;; amdgpu-corpus repo=ROCm/rocFFT kind=compiled arch=gfx950 opt=O3
	.text
	.amdgcn_target "amdgcn-amd-amdhsa--gfx950"
	.amdhsa_code_object_version 6
	.protected	bluestein_single_fwd_len162_dim1_dp_op_CI_CI ; -- Begin function bluestein_single_fwd_len162_dim1_dp_op_CI_CI
	.globl	bluestein_single_fwd_len162_dim1_dp_op_CI_CI
	.p2align	8
	.type	bluestein_single_fwd_len162_dim1_dp_op_CI_CI,@function
bluestein_single_fwd_len162_dim1_dp_op_CI_CI: ; @bluestein_single_fwd_len162_dim1_dp_op_CI_CI
; %bb.0:
	s_load_dwordx4 s[16:19], s[0:1], 0x28
	v_mul_u32_u24_e32 v1, 0x97c, v0
	v_lshrrev_b32_e32 v2, 16, v1
	v_mad_u64_u32 v[74:75], s[2:3], s2, 9, v[2:3]
	v_mov_b32_e32 v75, 0
	s_waitcnt lgkmcnt(0)
	v_cmp_gt_u64_e32 vcc, s[16:17], v[74:75]
	s_and_saveexec_b64 s[2:3], vcc
	s_cbranch_execz .LBB0_2
; %bb.1:
	s_load_dwordx4 s[4:7], s[0:1], 0x18
	s_load_dwordx4 s[8:11], s[0:1], 0x0
	v_mul_lo_u16_e32 v1, 27, v2
	v_sub_u16_e32 v72, v0, v1
	v_mov_b32_e32 v4, s18
	s_waitcnt lgkmcnt(0)
	s_load_dwordx4 s[12:15], s[4:5], 0x0
	v_mov_b32_e32 v5, s19
	v_mov_b32_e32 v75, 0x1b0
	v_lshlrev_b32_e32 v77, 4, v72
	global_load_dwordx4 v[20:23], v77, s[8:9]
	s_waitcnt lgkmcnt(0)
	v_mad_u64_u32 v[0:1], s[2:3], s14, v74, 0
	v_mov_b32_e32 v2, v1
	v_mad_u64_u32 v[2:3], s[2:3], s15, v74, v[2:3]
	v_mov_b32_e32 v1, v2
	v_mad_u64_u32 v[2:3], s[2:3], s12, v72, 0
	v_mov_b32_e32 v6, v3
	v_mad_u64_u32 v[6:7], s[2:3], s13, v72, v[6:7]
	v_mov_b32_e32 v3, v6
	v_lshl_add_u64 v[0:1], v[0:1], 4, v[4:5]
	v_lshl_add_u64 v[0:1], v[2:3], 4, v[0:1]
	global_load_dwordx4 v[24:27], v[0:1], off
	v_mad_u64_u32 v[0:1], s[2:3], s12, v75, v[0:1]
	s_mul_i32 s4, s13, 0x1b0
	v_add_u32_e32 v1, s4, v1
	global_load_dwordx4 v[12:15], v77, s[8:9] offset:432
	global_load_dwordx4 v[28:31], v[0:1], off
	v_mad_u64_u32 v[4:5], s[2:3], s12, v75, v[0:1]
	v_add_u32_e32 v5, s4, v5
	global_load_dwordx4 v[32:35], v[4:5], off
	global_load_dwordx4 v[0:3], v77, s[8:9] offset:864
	v_mad_u64_u32 v[4:5], s[2:3], s12, v75, v[4:5]
	v_add_u32_e32 v5, s4, v5
	global_load_dwordx4 v[16:19], v77, s[8:9] offset:1296
	global_load_dwordx4 v[36:39], v[4:5], off
	v_mad_u64_u32 v[8:9], s[2:3], s12, v75, v[4:5]
	v_add_u32_e32 v9, s4, v9
	global_load_dwordx4 v[40:43], v[8:9], off
	global_load_dwordx4 v[4:7], v77, s[8:9] offset:1728
	v_mad_u64_u32 v[48:49], s[2:3], s12, v75, v[8:9]
	v_add_u32_e32 v49, s4, v49
	global_load_dwordx4 v[8:11], v77, s[8:9] offset:2160
	global_load_dwordx4 v[44:47], v[48:49], off
	s_mov_b32 s4, 0x38e38e39
	v_mul_hi_u32 v48, v74, s4
	v_lshrrev_b32_e32 v48, 1, v48
	v_lshl_add_u32 v48, v48, 3, v48
	v_sub_u32_e32 v48, v74, v48
	v_mul_u32_u24_e32 v48, 0xa2, v48
	v_lshlrev_b32_e32 v56, 4, v48
	v_add_u32_e32 v76, v77, v56
	s_load_dwordx4 s[4:7], s[6:7], 0x0
	s_mov_b32 s2, 0xe8584caa
	s_mov_b32 s3, 0x3febb67a
	;; [unrolled: 1-line block ×4, first 2 shown]
	s_movk_i32 s14, 0xab
	s_mov_b32 s15, 0
	v_mov_b32_e32 v73, s15
	v_mov_b32_e32 v82, 5
	v_cmp_gt_u16_e32 vcc, 18, v72
	s_load_dwordx2 s[0:1], s[0:1], 0x38
	s_waitcnt vmcnt(10)
	v_mul_f64 v[48:49], v[26:27], v[22:23]
	v_mul_f64 v[50:51], v[24:25], v[22:23]
	v_fmac_f64_e32 v[48:49], v[24:25], v[20:21]
	v_fma_f64 v[50:51], v[26:27], v[20:21], -v[50:51]
	ds_write_b128 v76, v[48:51]
	s_waitcnt vmcnt(8)
	v_mul_f64 v[24:25], v[30:31], v[14:15]
	v_mul_f64 v[26:27], v[28:29], v[14:15]
	v_fmac_f64_e32 v[24:25], v[28:29], v[12:13]
	v_fma_f64 v[26:27], v[30:31], v[12:13], -v[26:27]
	ds_write_b128 v76, v[24:27] offset:432
	s_waitcnt vmcnt(6)
	v_mul_f64 v[24:25], v[34:35], v[2:3]
	v_mul_f64 v[26:27], v[32:33], v[2:3]
	v_fmac_f64_e32 v[24:25], v[32:33], v[0:1]
	v_fma_f64 v[26:27], v[34:35], v[0:1], -v[26:27]
	ds_write_b128 v76, v[24:27] offset:864
	;; [unrolled: 6-line block ×5, first 2 shown]
	s_waitcnt lgkmcnt(0)
	s_barrier
	ds_read_b128 v[24:27], v76 offset:864
	ds_read_b128 v[28:31], v76
	ds_read_b128 v[32:35], v76 offset:1728
	ds_read_b128 v[36:39], v76 offset:432
	;; [unrolled: 1-line block ×4, first 2 shown]
	s_waitcnt lgkmcnt(4)
	v_add_f64 v[54:55], v[30:31], v[26:27]
	s_waitcnt lgkmcnt(3)
	v_add_f64 v[50:51], v[24:25], v[32:33]
	v_add_f64 v[52:53], v[26:27], -v[34:35]
	v_add_f64 v[26:27], v[26:27], v[34:35]
	v_add_f64 v[48:49], v[28:29], v[24:25]
	v_add_f64 v[24:25], v[24:25], -v[32:33]
	v_fmac_f64_e32 v[28:29], -0.5, v[50:51]
	v_fmac_f64_e32 v[30:31], -0.5, v[26:27]
	v_add_f64 v[50:51], v[54:55], v[34:35]
	v_fma_f64 v[54:55], s[2:3], v[52:53], v[28:29]
	v_fmac_f64_e32 v[28:29], s[12:13], v[52:53]
	v_fma_f64 v[52:53], s[12:13], v[24:25], v[30:31]
	v_fmac_f64_e32 v[30:31], s[2:3], v[24:25]
	s_waitcnt lgkmcnt(1)
	v_add_f64 v[24:25], v[36:37], v[40:41]
	s_waitcnt lgkmcnt(0)
	v_add_f64 v[58:59], v[24:25], v[44:45]
	v_add_f64 v[24:25], v[40:41], v[44:45]
	v_fmac_f64_e32 v[36:37], -0.5, v[24:25]
	v_add_f64 v[24:25], v[42:43], -v[46:47]
	v_fma_f64 v[26:27], s[2:3], v[24:25], v[36:37]
	v_fmac_f64_e32 v[36:37], s[12:13], v[24:25]
	v_add_f64 v[24:25], v[38:39], v[42:43]
	v_add_f64 v[60:61], v[24:25], v[46:47]
	;; [unrolled: 1-line block ×3, first 2 shown]
	v_fmac_f64_e32 v[38:39], -0.5, v[24:25]
	v_add_f64 v[24:25], v[40:41], -v[44:45]
	v_add_f64 v[48:49], v[48:49], v[32:33]
	v_fma_f64 v[34:35], s[12:13], v[24:25], v[38:39]
	v_fmac_f64_e32 v[38:39], s[2:3], v[24:25]
	v_add_f64 v[24:25], v[48:49], v[58:59]
	v_mul_f64 v[42:43], v[34:35], s[2:3]
	v_mul_f64 v[46:47], v[36:37], -0.5
	v_mul_f64 v[62:63], v[26:27], s[12:13]
	v_mul_f64 v[64:65], v[38:39], -0.5
	v_add_f64 v[40:41], v[48:49], -v[58:59]
	v_mul_lo_u16_e32 v48, 6, v72
	v_fmac_f64_e32 v[42:43], 0.5, v[26:27]
	v_fmac_f64_e32 v[46:47], s[2:3], v[38:39]
	v_fmac_f64_e32 v[62:63], 0.5, v[34:35]
	v_fmac_f64_e32 v[64:65], s[12:13], v[36:37]
	v_add_f64 v[26:27], v[50:51], v[60:61]
	v_lshl_add_u32 v78, v48, 4, v56
	v_add_f64 v[32:33], v[54:55], v[42:43]
	v_add_f64 v[36:37], v[28:29], v[46:47]
	;; [unrolled: 1-line block ×4, first 2 shown]
	v_add_f64 v[44:45], v[54:55], -v[42:43]
	v_add_f64 v[42:43], v[50:51], -v[60:61]
	;; [unrolled: 1-line block ×5, first 2 shown]
	s_barrier
	ds_write_b128 v78, v[24:27]
	ds_write_b128 v78, v[32:35] offset:16
	ds_write_b128 v78, v[36:39] offset:32
	;; [unrolled: 1-line block ×5, first 2 shown]
	v_mul_lo_u16_sdwa v24, v72, s14 dst_sel:DWORD dst_unused:UNUSED_PAD src0_sel:BYTE_0 src1_sel:DWORD
	v_lshrrev_b16_e32 v57, 10, v24
	v_mul_lo_u16_e32 v24, 6, v57
	v_sub_u16_e32 v79, v72, v24
	v_lshlrev_b16_e32 v24, 1, v79
	v_and_b32_e32 v24, 0xfe, v24
	v_lshlrev_b32_e32 v32, 4, v24
	v_lshl_add_u64 v[64:65], v[72:73], 0, 27
	s_waitcnt lgkmcnt(0)
	s_barrier
	global_load_dwordx4 v[28:31], v32, s[10:11]
	global_load_dwordx4 v[24:27], v32, s[10:11] offset:16
	v_mul_lo_u16_sdwa v32, v64, s14 dst_sel:DWORD dst_unused:UNUSED_PAD src0_sel:BYTE_0 src1_sel:DWORD
	v_lshrrev_b16_e32 v65, 10, v32
	v_mul_lo_u16_e32 v32, 6, v65
	v_sub_u16_e32 v83, v64, v32
	v_lshlrev_b32_sdwa v40, v82, v83 dst_sel:DWORD dst_unused:UNUSED_PAD src0_sel:DWORD src1_sel:BYTE_0
	global_load_dwordx4 v[32:35], v40, s[10:11]
	global_load_dwordx4 v[36:39], v40, s[10:11] offset:16
	ds_read_b128 v[40:43], v76 offset:864
	ds_read_b128 v[44:47], v76 offset:1728
	;; [unrolled: 1-line block ×4, first 2 shown]
	s_movk_i32 s14, 0xffee
	s_mov_b32 s15, -1
	s_waitcnt vmcnt(3) lgkmcnt(3)
	v_mul_f64 v[58:59], v[42:43], v[30:31]
	v_mul_f64 v[60:61], v[40:41], v[30:31]
	v_fma_f64 v[58:59], v[40:41], v[28:29], -v[58:59]
	v_fmac_f64_e32 v[60:61], v[42:43], v[28:29]
	ds_read_b128 v[40:43], v76
	s_waitcnt vmcnt(2) lgkmcnt(3)
	v_mul_f64 v[62:63], v[46:47], v[26:27]
	v_mul_f64 v[66:67], v[44:45], v[26:27]
	v_fma_f64 v[62:63], v[44:45], v[24:25], -v[62:63]
	s_waitcnt vmcnt(0) lgkmcnt(1)
	v_mul_f64 v[44:45], v[54:55], v[38:39]
	v_fma_f64 v[80:81], v[52:53], v[36:37], -v[44:45]
	v_mul_f64 v[52:53], v[52:53], v[38:39]
	v_mul_f64 v[68:69], v[50:51], v[34:35]
	;; [unrolled: 1-line block ×3, first 2 shown]
	v_fmac_f64_e32 v[52:53], v[54:55], v[36:37]
	v_mad_legacy_u16 v54, v57, 18, v79
	v_fmac_f64_e32 v[66:67], v[46:47], v[24:25]
	ds_read_b128 v[44:47], v76 offset:432
	v_fma_f64 v[68:69], v[48:49], v[32:33], -v[68:69]
	v_fmac_f64_e32 v[70:71], v[50:51], v[32:33]
	s_waitcnt lgkmcnt(1)
	v_add_f64 v[48:49], v[40:41], v[58:59]
	v_add_f64 v[50:51], v[42:43], v[60:61]
	v_and_b32_e32 v54, 0xff, v54
	v_add_f64 v[48:49], v[48:49], v[62:63]
	v_add_f64 v[50:51], v[50:51], v[66:67]
	v_lshl_add_u32 v79, v54, 4, v56
	s_waitcnt lgkmcnt(0)
	s_barrier
	ds_write_b128 v79, v[48:51]
	v_add_f64 v[48:49], v[58:59], v[62:63]
	v_fmac_f64_e32 v[40:41], -0.5, v[48:49]
	v_add_f64 v[48:49], v[60:61], v[66:67]
	v_add_f64 v[54:55], v[60:61], -v[66:67]
	v_fmac_f64_e32 v[42:43], -0.5, v[48:49]
	v_add_f64 v[58:59], v[58:59], -v[62:63]
	v_fma_f64 v[48:49], s[2:3], v[54:55], v[40:41]
	v_fma_f64 v[50:51], s[12:13], v[58:59], v[42:43]
	v_fmac_f64_e32 v[40:41], s[12:13], v[54:55]
	v_fmac_f64_e32 v[42:43], s[2:3], v[58:59]
	ds_write_b128 v79, v[40:43] offset:192
	v_add_f64 v[40:41], v[68:69], v[80:81]
	ds_write_b128 v79, v[48:51] offset:96
	v_add_f64 v[42:43], v[44:45], v[68:69]
	v_fmac_f64_e32 v[44:45], -0.5, v[40:41]
	v_add_f64 v[48:49], v[70:71], -v[52:53]
	v_fma_f64 v[40:41], s[2:3], v[48:49], v[44:45]
	v_fmac_f64_e32 v[44:45], s[12:13], v[48:49]
	v_add_f64 v[48:49], v[42:43], v[80:81]
	v_add_f64 v[42:43], v[46:47], v[70:71]
	;; [unrolled: 1-line block ×4, first 2 shown]
	v_fmac_f64_e32 v[46:47], -0.5, v[42:43]
	v_add_f64 v[52:53], v[68:69], -v[80:81]
	v_fma_f64 v[42:43], s[12:13], v[52:53], v[46:47]
	v_fmac_f64_e32 v[46:47], s[2:3], v[52:53]
	v_mul_u32_u24_e32 v52, 18, v65
	v_add_u32_sdwa v52, v52, v83 dst_sel:DWORD dst_unused:UNUSED_PAD src0_sel:DWORD src1_sel:BYTE_0
	v_lshl_add_u32 v80, v52, 4, v56
	ds_write_b128 v80, v[48:51]
	ds_write_b128 v80, v[40:43] offset:96
	ds_write_b128 v80, v[44:47] offset:192
	v_lshl_add_u64 v[40:41], v[72:73], 0, s[14:15]
	v_cndmask_b32_e64 v63, v41, 0, vcc
	v_cndmask_b32_e32 v62, v40, v72, vcc
	v_lshlrev_b64 v[40:41], 5, v[62:63]
	v_lshl_add_u64 v[48:49], s[10:11], 0, v[40:41]
	s_waitcnt lgkmcnt(0)
	s_barrier
	global_load_dwordx4 v[40:43], v[48:49], off offset:192
	global_load_dwordx4 v[44:47], v[48:49], off offset:208
	v_mov_b32_e32 v48, 57
	v_mul_lo_u16_sdwa v48, v64, v48 dst_sel:DWORD dst_unused:UNUSED_PAD src0_sel:BYTE_0 src1_sel:DWORD
	v_lshrrev_b16_e32 v57, 10, v48
	v_mul_lo_u16_e32 v48, 18, v57
	v_sub_u16_e32 v65, v64, v48
	v_lshlrev_b32_sdwa v58, v82, v65 dst_sel:DWORD dst_unused:UNUSED_PAD src0_sel:DWORD src1_sel:BYTE_0
	global_load_dwordx4 v[48:51], v58, s[10:11] offset:192
	global_load_dwordx4 v[52:55], v58, s[10:11] offset:208
	ds_read_b128 v[58:61], v76 offset:864
	ds_read_b128 v[66:69], v76 offset:1728
	;; [unrolled: 1-line block ×4, first 2 shown]
	v_cmp_lt_u16_e32 vcc, 17, v72
	v_mad_legacy_u16 v57, v57, 54, v65
	v_and_b32_e32 v57, 0xff, v57
	v_cndmask_b32_e64 v63, 0, 54, vcc
	v_add_u32_e32 v62, v62, v63
	v_lshl_add_u32 v73, v62, 4, v56
	v_lshl_add_u32 v81, v57, 4, v56
	v_lshlrev_b32_e32 v65, 5, v72
	s_waitcnt vmcnt(3) lgkmcnt(3)
	v_mul_f64 v[70:71], v[60:61], v[42:43]
	v_mul_f64 v[90:91], v[58:59], v[42:43]
	v_fma_f64 v[70:71], v[58:59], v[40:41], -v[70:71]
	v_fmac_f64_e32 v[90:91], v[60:61], v[40:41]
	ds_read_b128 v[58:61], v76
	s_waitcnt vmcnt(2) lgkmcnt(3)
	v_mul_f64 v[92:93], v[68:69], v[46:47]
	v_mul_f64 v[94:95], v[66:67], v[46:47]
	s_waitcnt vmcnt(1) lgkmcnt(2)
	v_mul_f64 v[96:97], v[84:85], v[50:51]
	v_fma_f64 v[92:93], v[66:67], v[44:45], -v[92:93]
	v_mul_f64 v[98:99], v[82:83], v[50:51]
	s_waitcnt vmcnt(0) lgkmcnt(1)
	v_mul_f64 v[66:67], v[88:89], v[54:55]
	v_fmac_f64_e32 v[94:95], v[68:69], v[44:45]
	v_fma_f64 v[96:97], v[82:83], v[48:49], -v[96:97]
	v_fmac_f64_e32 v[98:99], v[84:85], v[48:49]
	v_fma_f64 v[100:101], v[86:87], v[52:53], -v[66:67]
	ds_read_b128 v[66:69], v76 offset:432
	s_waitcnt lgkmcnt(1)
	v_add_f64 v[82:83], v[58:59], v[70:71]
	v_add_f64 v[84:85], v[60:61], v[90:91]
	;; [unrolled: 1-line block ×4, first 2 shown]
	s_waitcnt lgkmcnt(0)
	s_barrier
	ds_write_b128 v73, v[82:85]
	v_add_f64 v[62:63], v[70:71], v[92:93]
	v_add_f64 v[82:83], v[90:91], v[94:95]
	v_fmac_f64_e32 v[58:59], -0.5, v[62:63]
	v_add_f64 v[62:63], v[90:91], -v[94:95]
	v_fmac_f64_e32 v[60:61], -0.5, v[82:83]
	v_add_f64 v[70:71], v[70:71], -v[92:93]
	v_mul_f64 v[86:87], v[86:87], v[54:55]
	v_fma_f64 v[82:83], s[2:3], v[62:63], v[58:59]
	v_fma_f64 v[84:85], s[12:13], v[70:71], v[60:61]
	v_fmac_f64_e32 v[58:59], s[12:13], v[62:63]
	v_fmac_f64_e32 v[60:61], s[2:3], v[70:71]
	v_fmac_f64_e32 v[86:87], v[88:89], v[52:53]
	ds_write_b128 v73, v[58:61] offset:576
	v_add_f64 v[58:59], v[66:67], v[96:97]
	v_add_f64 v[60:61], v[68:69], v[98:99]
	;; [unrolled: 1-line block ×5, first 2 shown]
	v_fmac_f64_e32 v[66:67], -0.5, v[56:57]
	v_add_f64 v[56:57], v[98:99], v[86:87]
	ds_write_b128 v73, v[82:85] offset:288
	ds_write_b128 v81, v[58:61]
	v_add_f64 v[60:61], v[98:99], -v[86:87]
	v_fmac_f64_e32 v[68:69], -0.5, v[56:57]
	v_add_f64 v[62:63], v[96:97], -v[100:101]
	v_fma_f64 v[56:57], s[2:3], v[60:61], v[66:67]
	v_fma_f64 v[58:59], s[12:13], v[62:63], v[68:69]
	v_fmac_f64_e32 v[66:67], s[12:13], v[60:61]
	v_fmac_f64_e32 v[68:69], s[2:3], v[62:63]
	ds_write_b128 v81, v[56:59] offset:288
	ds_write_b128 v81, v[66:69] offset:576
	s_waitcnt lgkmcnt(0)
	s_barrier
	global_load_dwordx4 v[56:59], v65, s[10:11] offset:768
	global_load_dwordx4 v[60:63], v65, s[10:11] offset:784
	v_lshlrev_b32_e32 v82, 5, v64
	global_load_dwordx4 v[64:67], v82, s[10:11] offset:768
	global_load_dwordx4 v[68:71], v82, s[10:11] offset:784
	ds_read_b128 v[82:85], v76 offset:864
	ds_read_b128 v[86:89], v76 offset:1296
	;; [unrolled: 1-line block ×4, first 2 shown]
	ds_read_b128 v[98:101], v76
	ds_read_b128 v[102:105], v76 offset:432
	s_waitcnt vmcnt(3) lgkmcnt(5)
	v_mul_f64 v[106:107], v[84:85], v[58:59]
	v_mul_f64 v[108:109], v[82:83], v[58:59]
	s_waitcnt vmcnt(2) lgkmcnt(3)
	v_mul_f64 v[110:111], v[92:93], v[62:63]
	v_mul_f64 v[112:113], v[90:91], v[62:63]
	v_fma_f64 v[106:107], v[82:83], v[56:57], -v[106:107]
	v_fmac_f64_e32 v[108:109], v[84:85], v[56:57]
	v_fma_f64 v[90:91], v[90:91], v[60:61], -v[110:111]
	v_fmac_f64_e32 v[112:113], v[92:93], v[60:61]
	s_waitcnt lgkmcnt(1)
	v_add_f64 v[82:83], v[98:99], v[106:107]
	v_add_f64 v[84:85], v[100:101], v[108:109]
	;; [unrolled: 1-line block ×4, first 2 shown]
	ds_write_b128 v76, v[82:85]
	v_add_f64 v[82:83], v[106:107], v[90:91]
	v_fmac_f64_e32 v[98:99], -0.5, v[82:83]
	v_add_f64 v[82:83], v[108:109], v[112:113]
	s_waitcnt vmcnt(1)
	v_mul_f64 v[114:115], v[88:89], v[66:67]
	v_mul_f64 v[116:117], v[86:87], v[66:67]
	v_add_f64 v[92:93], v[108:109], -v[112:113]
	v_fmac_f64_e32 v[100:101], -0.5, v[82:83]
	v_add_f64 v[90:91], v[106:107], -v[90:91]
	s_waitcnt vmcnt(0)
	v_mul_f64 v[118:119], v[96:97], v[70:71]
	v_mul_f64 v[120:121], v[94:95], v[70:71]
	v_fma_f64 v[86:87], v[86:87], v[64:65], -v[114:115]
	v_fmac_f64_e32 v[116:117], v[88:89], v[64:65]
	v_fma_f64 v[82:83], s[2:3], v[92:93], v[98:99]
	v_fma_f64 v[84:85], s[12:13], v[90:91], v[100:101]
	v_fma_f64 v[88:89], v[94:95], v[68:69], -v[118:119]
	v_fmac_f64_e32 v[120:121], v[96:97], v[68:69]
	ds_write_b128 v76, v[82:85] offset:864
	s_waitcnt lgkmcnt(2)
	v_add_f64 v[82:83], v[102:103], v[86:87]
	v_add_f64 v[84:85], v[104:105], v[116:117]
	;; [unrolled: 1-line block ×4, first 2 shown]
	ds_write_b128 v76, v[82:85] offset:432
	v_add_f64 v[82:83], v[86:87], v[88:89]
	v_fmac_f64_e32 v[102:103], -0.5, v[82:83]
	v_add_f64 v[82:83], v[116:117], v[120:121]
	v_fmac_f64_e32 v[100:101], s[2:3], v[90:91]
	v_add_f64 v[90:91], v[116:117], -v[120:121]
	v_fmac_f64_e32 v[104:105], -0.5, v[82:83]
	v_add_f64 v[86:87], v[86:87], -v[88:89]
	v_fmac_f64_e32 v[98:99], s[12:13], v[92:93]
	v_fma_f64 v[82:83], s[2:3], v[90:91], v[102:103]
	v_fma_f64 v[84:85], s[12:13], v[86:87], v[104:105]
	v_fmac_f64_e32 v[102:103], s[12:13], v[90:91]
	v_fmac_f64_e32 v[104:105], s[2:3], v[86:87]
	ds_write_b128 v76, v[98:101] offset:1728
	ds_write_b128 v76, v[82:85] offset:1296
	;; [unrolled: 1-line block ×3, first 2 shown]
	s_waitcnt lgkmcnt(0)
	s_barrier
	global_load_dwordx4 v[82:85], v77, s[8:9] offset:2592
	s_add_u32 s8, s8, 0xa20
	s_addc_u32 s9, s9, 0
	global_load_dwordx4 v[86:89], v77, s[8:9] offset:432
	global_load_dwordx4 v[90:93], v77, s[8:9] offset:864
	;; [unrolled: 1-line block ×5, first 2 shown]
	ds_read_b128 v[106:109], v76
	ds_read_b128 v[110:113], v76 offset:432
	s_waitcnt vmcnt(4) lgkmcnt(0)
	v_mul_f64 v[118:119], v[112:113], v[88:89]
	v_mul_f64 v[114:115], v[108:109], v[84:85]
	;; [unrolled: 1-line block ×3, first 2 shown]
	v_fma_f64 v[114:115], v[106:107], v[82:83], -v[114:115]
	v_fmac_f64_e32 v[116:117], v[108:109], v[82:83]
	ds_read_b128 v[82:85], v76 offset:864
	ds_read_b128 v[106:109], v76 offset:1296
	v_mul_f64 v[120:121], v[110:111], v[88:89]
	v_fma_f64 v[118:119], v[110:111], v[86:87], -v[118:119]
	v_fmac_f64_e32 v[120:121], v[112:113], v[86:87]
	s_waitcnt vmcnt(3) lgkmcnt(1)
	v_mul_f64 v[86:87], v[84:85], v[92:93]
	v_mul_f64 v[88:89], v[82:83], v[92:93]
	v_fma_f64 v[86:87], v[82:83], v[90:91], -v[86:87]
	v_fmac_f64_e32 v[88:89], v[84:85], v[90:91]
	ds_read_b128 v[82:85], v76 offset:1728
	ds_read_b128 v[90:93], v76 offset:2160
	s_waitcnt vmcnt(2) lgkmcnt(2)
	v_mul_f64 v[110:111], v[108:109], v[96:97]
	v_mul_f64 v[112:113], v[106:107], v[96:97]
	v_fma_f64 v[110:111], v[106:107], v[94:95], -v[110:111]
	s_waitcnt vmcnt(1) lgkmcnt(1)
	v_mul_f64 v[96:97], v[82:83], v[100:101]
	v_fmac_f64_e32 v[112:113], v[108:109], v[94:95]
	v_mul_f64 v[94:95], v[84:85], v[100:101]
	s_waitcnt vmcnt(0) lgkmcnt(0)
	v_mul_f64 v[100:101], v[92:93], v[104:105]
	v_fmac_f64_e32 v[96:97], v[84:85], v[98:99]
	v_mul_f64 v[84:85], v[90:91], v[104:105]
	v_fma_f64 v[94:95], v[82:83], v[98:99], -v[94:95]
	v_fma_f64 v[82:83], v[90:91], v[102:103], -v[100:101]
	v_fmac_f64_e32 v[84:85], v[92:93], v[102:103]
	ds_write_b128 v76, v[114:117]
	ds_write_b128 v76, v[118:121] offset:432
	ds_write_b128 v76, v[86:89] offset:864
	;; [unrolled: 1-line block ×5, first 2 shown]
	s_waitcnt lgkmcnt(0)
	s_barrier
	ds_read_b128 v[82:85], v76 offset:1296
	ds_read_b128 v[86:89], v76 offset:432
	ds_read_b128 v[90:93], v76 offset:2160
	ds_read_b128 v[94:97], v76
	ds_read_b128 v[98:101], v76 offset:864
	ds_read_b128 v[102:105], v76 offset:1728
	s_waitcnt lgkmcnt(4)
	v_add_f64 v[106:107], v[86:87], v[82:83]
	s_waitcnt lgkmcnt(3)
	v_add_f64 v[108:109], v[82:83], v[90:91]
	v_add_f64 v[110:111], v[84:85], -v[92:93]
	v_fmac_f64_e32 v[86:87], -0.5, v[108:109]
	v_fma_f64 v[108:109], s[12:13], v[110:111], v[86:87]
	v_fmac_f64_e32 v[86:87], s[2:3], v[110:111]
	v_add_f64 v[110:111], v[88:89], v[84:85]
	v_add_f64 v[84:85], v[84:85], v[92:93]
	v_fmac_f64_e32 v[88:89], -0.5, v[84:85]
	v_add_f64 v[82:83], v[82:83], -v[90:91]
	v_fma_f64 v[112:113], s[2:3], v[82:83], v[88:89]
	v_fmac_f64_e32 v[88:89], s[12:13], v[82:83]
	s_waitcnt lgkmcnt(0)
	v_add_f64 v[82:83], v[98:99], v[102:103]
	v_add_f64 v[116:117], v[94:95], v[98:99]
	v_fmac_f64_e32 v[94:95], -0.5, v[82:83]
	v_add_f64 v[82:83], v[100:101], -v[104:105]
	v_fma_f64 v[118:119], s[12:13], v[82:83], v[94:95]
	v_fmac_f64_e32 v[94:95], s[2:3], v[82:83]
	v_add_f64 v[82:83], v[100:101], v[104:105]
	v_mul_f64 v[114:115], v[88:89], s[12:13]
	v_mul_f64 v[88:89], v[88:89], -0.5
	v_add_f64 v[120:121], v[96:97], v[100:101]
	v_fmac_f64_e32 v[96:97], -0.5, v[82:83]
	v_add_f64 v[82:83], v[98:99], -v[102:103]
	v_fmac_f64_e32 v[114:115], -0.5, v[86:87]
	v_fmac_f64_e32 v[88:89], s[2:3], v[86:87]
	v_fma_f64 v[122:123], s[2:3], v[82:83], v[96:97]
	v_fmac_f64_e32 v[96:97], s[12:13], v[82:83]
	v_add_f64 v[82:83], v[94:95], v[114:115]
	v_add_f64 v[84:85], v[96:97], v[88:89]
	v_add_f64 v[86:87], v[94:95], -v[114:115]
	v_add_f64 v[88:89], v[96:97], -v[88:89]
	v_add_f64 v[94:95], v[116:117], v[102:103]
	v_add_f64 v[96:97], v[120:121], v[104:105]
	;; [unrolled: 1-line block ×4, first 2 shown]
	v_mul_f64 v[102:103], v[112:113], s[12:13]
	v_mul_f64 v[104:105], v[112:113], 0.5
	v_add_f64 v[90:91], v[94:95], v[98:99]
	v_add_f64 v[92:93], v[96:97], v[100:101]
	v_fmac_f64_e32 v[102:103], 0.5, v[108:109]
	v_fmac_f64_e32 v[104:105], s[2:3], v[108:109]
	v_add_f64 v[94:95], v[94:95], -v[98:99]
	v_add_f64 v[96:97], v[96:97], -v[100:101]
	v_add_f64 v[98:99], v[118:119], v[102:103]
	v_add_f64 v[100:101], v[122:123], v[104:105]
	v_add_f64 v[102:103], v[118:119], -v[102:103]
	v_add_f64 v[104:105], v[122:123], -v[104:105]
	s_barrier
	ds_write_b128 v78, v[90:93]
	ds_write_b128 v78, v[98:101] offset:16
	ds_write_b128 v78, v[82:85] offset:32
	;; [unrolled: 1-line block ×5, first 2 shown]
	s_waitcnt lgkmcnt(0)
	s_barrier
	ds_read_b128 v[82:85], v76 offset:864
	ds_read_b128 v[86:89], v76 offset:1296
	;; [unrolled: 1-line block ×3, first 2 shown]
	s_waitcnt lgkmcnt(2)
	v_mul_f64 v[94:95], v[30:31], v[84:85]
	v_mul_f64 v[30:31], v[30:31], v[82:83]
	v_fmac_f64_e32 v[94:95], v[28:29], v[82:83]
	v_fma_f64 v[82:83], v[28:29], v[84:85], -v[30:31]
	ds_read_b128 v[28:31], v76 offset:2160
	s_waitcnt lgkmcnt(1)
	v_mul_f64 v[84:85], v[26:27], v[92:93]
	v_mul_f64 v[26:27], v[26:27], v[90:91]
	v_fmac_f64_e32 v[84:85], v[24:25], v[90:91]
	v_fma_f64 v[90:91], v[24:25], v[92:93], -v[26:27]
	v_mul_f64 v[92:93], v[34:35], v[88:89]
	v_mul_f64 v[24:25], v[34:35], v[86:87]
	v_fmac_f64_e32 v[92:93], v[32:33], v[86:87]
	v_fma_f64 v[86:87], v[32:33], v[88:89], -v[24:25]
	ds_read_b128 v[24:27], v76
	s_waitcnt lgkmcnt(1)
	v_mul_f64 v[88:89], v[38:39], v[30:31]
	v_fmac_f64_e32 v[88:89], v[36:37], v[28:29]
	v_mul_f64 v[28:29], v[38:39], v[28:29]
	v_fma_f64 v[36:37], v[36:37], v[30:31], -v[28:29]
	ds_read_b128 v[28:31], v76 offset:432
	s_waitcnt lgkmcnt(1)
	v_add_f64 v[32:33], v[24:25], v[94:95]
	v_add_f64 v[34:35], v[26:27], v[82:83]
	;; [unrolled: 1-line block ×4, first 2 shown]
	s_waitcnt lgkmcnt(0)
	s_barrier
	ds_write_b128 v79, v[32:35]
	v_add_f64 v[32:33], v[94:95], v[84:85]
	v_fmac_f64_e32 v[24:25], -0.5, v[32:33]
	v_add_f64 v[32:33], v[82:83], v[90:91]
	v_add_f64 v[38:39], v[82:83], -v[90:91]
	v_fmac_f64_e32 v[26:27], -0.5, v[32:33]
	v_add_f64 v[82:83], v[94:95], -v[84:85]
	v_fma_f64 v[32:33], s[12:13], v[38:39], v[24:25]
	v_fma_f64 v[34:35], s[2:3], v[82:83], v[26:27]
	v_fmac_f64_e32 v[24:25], s[2:3], v[38:39]
	v_fmac_f64_e32 v[26:27], s[12:13], v[82:83]
	ds_write_b128 v79, v[24:27] offset:192
	v_add_f64 v[24:25], v[28:29], v[92:93]
	v_add_f64 v[26:27], v[30:31], v[86:87]
	;; [unrolled: 1-line block ×4, first 2 shown]
	ds_write_b128 v79, v[32:35] offset:96
	ds_write_b128 v80, v[24:27]
	v_add_f64 v[24:25], v[92:93], v[88:89]
	v_fmac_f64_e32 v[28:29], -0.5, v[24:25]
	v_add_f64 v[24:25], v[86:87], v[36:37]
	v_add_f64 v[32:33], v[86:87], -v[36:37]
	v_fmac_f64_e32 v[30:31], -0.5, v[24:25]
	v_add_f64 v[34:35], v[92:93], -v[88:89]
	v_fma_f64 v[24:25], s[12:13], v[32:33], v[28:29]
	v_fma_f64 v[26:27], s[2:3], v[34:35], v[30:31]
	v_fmac_f64_e32 v[28:29], s[2:3], v[32:33]
	v_fmac_f64_e32 v[30:31], s[12:13], v[34:35]
	ds_write_b128 v80, v[24:27] offset:96
	ds_write_b128 v80, v[28:31] offset:192
	s_waitcnt lgkmcnt(0)
	s_barrier
	ds_read_b128 v[24:27], v76 offset:864
	ds_read_b128 v[28:31], v76 offset:1296
	;; [unrolled: 1-line block ×3, first 2 shown]
	s_waitcnt lgkmcnt(2)
	v_mul_f64 v[36:37], v[42:43], v[26:27]
	v_fmac_f64_e32 v[36:37], v[40:41], v[24:25]
	v_mul_f64 v[24:25], v[42:43], v[24:25]
	v_fma_f64 v[38:39], v[40:41], v[26:27], -v[24:25]
	ds_read_b128 v[24:27], v76 offset:2160
	s_waitcnt lgkmcnt(1)
	v_mul_f64 v[40:41], v[46:47], v[34:35]
	v_fmac_f64_e32 v[40:41], v[44:45], v[32:33]
	v_mul_f64 v[32:33], v[46:47], v[32:33]
	v_fma_f64 v[42:43], v[44:45], v[34:35], -v[32:33]
	v_mul_f64 v[44:45], v[50:51], v[30:31]
	v_fmac_f64_e32 v[44:45], v[48:49], v[28:29]
	v_mul_f64 v[28:29], v[50:51], v[28:29]
	v_fma_f64 v[46:47], v[48:49], v[30:31], -v[28:29]
	ds_read_b128 v[28:31], v76
	s_waitcnt lgkmcnt(1)
	v_mul_f64 v[48:49], v[54:55], v[26:27]
	v_fmac_f64_e32 v[48:49], v[52:53], v[24:25]
	v_mul_f64 v[24:25], v[54:55], v[24:25]
	v_fma_f64 v[50:51], v[52:53], v[26:27], -v[24:25]
	ds_read_b128 v[24:27], v76 offset:432
	s_waitcnt lgkmcnt(1)
	v_add_f64 v[32:33], v[28:29], v[36:37]
	v_add_f64 v[34:35], v[30:31], v[38:39]
	;; [unrolled: 1-line block ×4, first 2 shown]
	s_waitcnt lgkmcnt(0)
	s_barrier
	ds_write_b128 v73, v[32:35]
	v_add_f64 v[32:33], v[36:37], v[40:41]
	v_fmac_f64_e32 v[28:29], -0.5, v[32:33]
	v_add_f64 v[34:35], v[38:39], -v[42:43]
	v_fma_f64 v[32:33], s[12:13], v[34:35], v[28:29]
	v_fmac_f64_e32 v[28:29], s[2:3], v[34:35]
	v_add_f64 v[34:35], v[38:39], v[42:43]
	v_fmac_f64_e32 v[30:31], -0.5, v[34:35]
	v_add_f64 v[36:37], v[36:37], -v[40:41]
	v_fma_f64 v[34:35], s[2:3], v[36:37], v[30:31]
	ds_write_b128 v73, v[32:35] offset:288
	v_add_f64 v[32:33], v[44:45], v[48:49]
	v_fmac_f64_e32 v[30:31], s[12:13], v[36:37]
	v_add_f64 v[34:35], v[24:25], v[44:45]
	v_fmac_f64_e32 v[24:25], -0.5, v[32:33]
	v_add_f64 v[36:37], v[46:47], -v[50:51]
	v_fma_f64 v[32:33], s[12:13], v[36:37], v[24:25]
	v_fmac_f64_e32 v[24:25], s[2:3], v[36:37]
	v_add_f64 v[36:37], v[34:35], v[48:49]
	v_add_f64 v[34:35], v[26:27], v[46:47]
	;; [unrolled: 1-line block ×4, first 2 shown]
	v_fmac_f64_e32 v[26:27], -0.5, v[34:35]
	v_add_f64 v[40:41], v[44:45], -v[48:49]
	v_fma_f64 v[34:35], s[2:3], v[40:41], v[26:27]
	v_fmac_f64_e32 v[26:27], s[12:13], v[40:41]
	ds_write_b128 v73, v[28:31] offset:576
	ds_write_b128 v81, v[36:39]
	ds_write_b128 v81, v[32:35] offset:288
	ds_write_b128 v81, v[24:27] offset:576
	s_waitcnt lgkmcnt(0)
	s_barrier
	ds_read_b128 v[24:27], v76 offset:864
	ds_read_b128 v[28:31], v76 offset:1296
	;; [unrolled: 1-line block ×3, first 2 shown]
	v_mov_b32_e32 v48, s0
	v_mov_b32_e32 v49, s1
	s_waitcnt lgkmcnt(2)
	v_mul_f64 v[38:39], v[58:59], v[26:27]
	v_fmac_f64_e32 v[38:39], v[56:57], v[24:25]
	v_mul_f64 v[24:25], v[58:59], v[24:25]
	v_fma_f64 v[40:41], v[56:57], v[26:27], -v[24:25]
	ds_read_b128 v[24:27], v76 offset:2160
	s_waitcnt lgkmcnt(1)
	v_mul_f64 v[42:43], v[62:63], v[34:35]
	v_mul_f64 v[46:47], v[66:67], v[30:31]
	v_fmac_f64_e32 v[42:43], v[60:61], v[32:33]
	v_mul_f64 v[32:33], v[62:63], v[32:33]
	v_fmac_f64_e32 v[46:47], v[64:65], v[28:29]
	v_mul_f64 v[28:29], v[66:67], v[28:29]
	v_fma_f64 v[44:45], v[60:61], v[34:35], -v[32:33]
	v_fma_f64 v[52:53], v[64:65], v[30:31], -v[28:29]
	ds_read_b128 v[28:31], v76
	ds_read_b128 v[32:35], v76 offset:432
	s_waitcnt lgkmcnt(2)
	v_mul_f64 v[54:55], v[70:71], v[26:27]
	v_fmac_f64_e32 v[54:55], v[68:69], v[24:25]
	v_mul_f64 v[24:25], v[70:71], v[24:25]
	v_fma_f64 v[56:57], v[68:69], v[26:27], -v[24:25]
	v_add_f64 v[26:27], v[38:39], v[42:43]
	s_waitcnt lgkmcnt(1)
	v_add_f64 v[24:25], v[28:29], v[38:39]
	v_fmac_f64_e32 v[28:29], -0.5, v[26:27]
	v_add_f64 v[26:27], v[40:41], -v[44:45]
	v_fma_f64 v[36:37], s[12:13], v[26:27], v[28:29]
	v_fmac_f64_e32 v[28:29], s[2:3], v[26:27]
	v_add_f64 v[26:27], v[30:31], v[40:41]
	v_add_f64 v[40:41], v[40:41], v[44:45]
	;; [unrolled: 1-line block ×3, first 2 shown]
	v_fmac_f64_e32 v[30:31], -0.5, v[40:41]
	v_add_f64 v[40:41], v[38:39], -v[42:43]
	v_add_f64 v[42:43], v[46:47], v[54:55]
	v_fma_f64 v[38:39], s[2:3], v[40:41], v[30:31]
	v_fmac_f64_e32 v[30:31], s[12:13], v[40:41]
	s_waitcnt lgkmcnt(0)
	v_add_f64 v[40:41], v[32:33], v[46:47]
	v_fmac_f64_e32 v[32:33], -0.5, v[42:43]
	v_add_f64 v[42:43], v[52:53], -v[56:57]
	v_add_f64 v[26:27], v[26:27], v[44:45]
	v_fma_f64 v[44:45], s[12:13], v[42:43], v[32:33]
	v_fmac_f64_e32 v[32:33], s[2:3], v[42:43]
	v_add_f64 v[42:43], v[34:35], v[52:53]
	v_add_f64 v[52:53], v[52:53], v[56:57]
	v_fmac_f64_e32 v[34:35], -0.5, v[52:53]
	v_add_f64 v[52:53], v[46:47], -v[54:55]
	v_add_f64 v[40:41], v[40:41], v[54:55]
	v_add_f64 v[42:43], v[42:43], v[56:57]
	v_fma_f64 v[46:47], s[2:3], v[52:53], v[34:35]
	v_fmac_f64_e32 v[34:35], s[12:13], v[52:53]
	ds_write_b128 v76, v[24:27]
	ds_write_b128 v76, v[36:39] offset:864
	ds_write_b128 v76, v[28:31] offset:1728
	;; [unrolled: 1-line block ×5, first 2 shown]
	s_waitcnt lgkmcnt(0)
	s_barrier
	ds_read_b128 v[24:27], v76
	v_mad_u64_u32 v[50:51], s[0:1], s6, v74, 0
	v_mov_b32_e32 v58, v51
	v_mad_u64_u32 v[28:29], s[0:1], s7, v74, v[58:59]
	v_mov_b32_e32 v51, v28
	ds_read_b128 v[28:31], v76 offset:432
	s_waitcnt lgkmcnt(1)
	v_mul_f64 v[32:33], v[22:23], v[26:27]
	s_mov_b32 s0, 0xfcd6e9e0
	v_mul_f64 v[22:23], v[22:23], v[24:25]
	v_fmac_f64_e32 v[32:33], v[20:21], v[24:25]
	s_mov_b32 s1, 0x3f7948b0
	v_fma_f64 v[20:21], v[20:21], v[26:27], -v[22:23]
	v_mul_f64 v[34:35], v[20:21], s[0:1]
	v_mad_u64_u32 v[20:21], s[2:3], s4, v72, 0
	v_mov_b32_e32 v22, v21
	v_mad_u64_u32 v[22:23], s[2:3], s5, v72, v[22:23]
	v_mov_b32_e32 v21, v22
	v_lshl_add_u64 v[22:23], v[50:51], 4, v[48:49]
	v_lshl_add_u64 v[24:25], v[20:21], 4, v[22:23]
	s_waitcnt lgkmcnt(0)
	v_mul_f64 v[20:21], v[14:15], v[30:31]
	v_mul_f64 v[14:15], v[14:15], v[28:29]
	v_fmac_f64_e32 v[20:21], v[12:13], v[28:29]
	v_fma_f64 v[12:13], v[12:13], v[30:31], -v[14:15]
	v_mul_f64 v[22:23], v[12:13], s[0:1]
	v_mad_u64_u32 v[28:29], s[2:3], s4, v75, v[24:25]
	ds_read_b128 v[12:15], v76 offset:864
	s_mulk_i32 s5, 0x1b0
	v_mul_f64 v[32:33], v[32:33], s[0:1]
	v_mul_f64 v[20:21], v[20:21], s[0:1]
	v_add_u32_e32 v29, s5, v29
	global_store_dwordx4 v[24:25], v[32:35], off
	global_store_dwordx4 v[28:29], v[20:23], off
	ds_read_b128 v[20:23], v76 offset:1296
	s_waitcnt lgkmcnt(1)
	v_mul_f64 v[24:25], v[2:3], v[14:15]
	v_mul_f64 v[2:3], v[2:3], v[12:13]
	v_fmac_f64_e32 v[24:25], v[0:1], v[12:13]
	v_fma_f64 v[0:1], v[0:1], v[14:15], -v[2:3]
	v_mad_u64_u32 v[28:29], s[2:3], s4, v75, v[28:29]
	v_mul_f64 v[26:27], v[0:1], s[0:1]
	v_add_u32_e32 v29, s5, v29
	s_waitcnt lgkmcnt(0)
	v_mul_f64 v[0:1], v[18:19], v[22:23]
	v_mul_f64 v[2:3], v[18:19], v[20:21]
	v_fmac_f64_e32 v[0:1], v[16:17], v[20:21]
	v_fma_f64 v[2:3], v[16:17], v[22:23], -v[2:3]
	ds_read_b128 v[12:15], v76 offset:1728
	v_mad_u64_u32 v[20:21], s[2:3], s4, v75, v[28:29]
	v_mul_f64 v[24:25], v[24:25], s[0:1]
	v_mul_f64 v[0:1], v[0:1], s[0:1]
	;; [unrolled: 1-line block ×3, first 2 shown]
	v_add_u32_e32 v21, s5, v21
	global_store_dwordx4 v[28:29], v[24:27], off
	global_store_dwordx4 v[20:21], v[0:3], off
	ds_read_b128 v[0:3], v76 offset:2160
	s_waitcnt lgkmcnt(1)
	v_mul_f64 v[16:17], v[6:7], v[14:15]
	v_mul_f64 v[6:7], v[6:7], v[12:13]
	v_fmac_f64_e32 v[16:17], v[4:5], v[12:13]
	v_fma_f64 v[4:5], v[4:5], v[14:15], -v[6:7]
	v_mul_f64 v[18:19], v[4:5], s[0:1]
	s_waitcnt lgkmcnt(0)
	v_mul_f64 v[4:5], v[10:11], v[2:3]
	v_mad_u64_u32 v[12:13], s[2:3], s4, v75, v[20:21]
	v_fmac_f64_e32 v[4:5], v[8:9], v[0:1]
	v_mul_f64 v[0:1], v[10:11], v[0:1]
	v_add_u32_e32 v13, s5, v13
	v_fma_f64 v[0:1], v[8:9], v[2:3], -v[0:1]
	v_mul_f64 v[16:17], v[16:17], s[0:1]
	v_mul_f64 v[4:5], v[4:5], s[0:1]
	;; [unrolled: 1-line block ×3, first 2 shown]
	v_mad_u64_u32 v[0:1], s[0:1], s4, v75, v[12:13]
	v_add_u32_e32 v1, s5, v1
	global_store_dwordx4 v[12:13], v[16:19], off
	global_store_dwordx4 v[0:1], v[4:7], off
.LBB0_2:
	s_endpgm
	.section	.rodata,"a",@progbits
	.p2align	6, 0x0
	.amdhsa_kernel bluestein_single_fwd_len162_dim1_dp_op_CI_CI
		.amdhsa_group_segment_fixed_size 23328
		.amdhsa_private_segment_fixed_size 0
		.amdhsa_kernarg_size 104
		.amdhsa_user_sgpr_count 2
		.amdhsa_user_sgpr_dispatch_ptr 0
		.amdhsa_user_sgpr_queue_ptr 0
		.amdhsa_user_sgpr_kernarg_segment_ptr 1
		.amdhsa_user_sgpr_dispatch_id 0
		.amdhsa_user_sgpr_kernarg_preload_length 0
		.amdhsa_user_sgpr_kernarg_preload_offset 0
		.amdhsa_user_sgpr_private_segment_size 0
		.amdhsa_uses_dynamic_stack 0
		.amdhsa_enable_private_segment 0
		.amdhsa_system_sgpr_workgroup_id_x 1
		.amdhsa_system_sgpr_workgroup_id_y 0
		.amdhsa_system_sgpr_workgroup_id_z 0
		.amdhsa_system_sgpr_workgroup_info 0
		.amdhsa_system_vgpr_workitem_id 0
		.amdhsa_next_free_vgpr 124
		.amdhsa_next_free_sgpr 20
		.amdhsa_accum_offset 124
		.amdhsa_reserve_vcc 1
		.amdhsa_float_round_mode_32 0
		.amdhsa_float_round_mode_16_64 0
		.amdhsa_float_denorm_mode_32 3
		.amdhsa_float_denorm_mode_16_64 3
		.amdhsa_dx10_clamp 1
		.amdhsa_ieee_mode 1
		.amdhsa_fp16_overflow 0
		.amdhsa_tg_split 0
		.amdhsa_exception_fp_ieee_invalid_op 0
		.amdhsa_exception_fp_denorm_src 0
		.amdhsa_exception_fp_ieee_div_zero 0
		.amdhsa_exception_fp_ieee_overflow 0
		.amdhsa_exception_fp_ieee_underflow 0
		.amdhsa_exception_fp_ieee_inexact 0
		.amdhsa_exception_int_div_zero 0
	.end_amdhsa_kernel
	.text
.Lfunc_end0:
	.size	bluestein_single_fwd_len162_dim1_dp_op_CI_CI, .Lfunc_end0-bluestein_single_fwd_len162_dim1_dp_op_CI_CI
                                        ; -- End function
	.section	.AMDGPU.csdata,"",@progbits
; Kernel info:
; codeLenInByte = 5452
; NumSgprs: 26
; NumVgprs: 124
; NumAgprs: 0
; TotalNumVgprs: 124
; ScratchSize: 0
; MemoryBound: 0
; FloatMode: 240
; IeeeMode: 1
; LDSByteSize: 23328 bytes/workgroup (compile time only)
; SGPRBlocks: 3
; VGPRBlocks: 15
; NumSGPRsForWavesPerEU: 26
; NumVGPRsForWavesPerEU: 124
; AccumOffset: 124
; Occupancy: 4
; WaveLimiterHint : 1
; COMPUTE_PGM_RSRC2:SCRATCH_EN: 0
; COMPUTE_PGM_RSRC2:USER_SGPR: 2
; COMPUTE_PGM_RSRC2:TRAP_HANDLER: 0
; COMPUTE_PGM_RSRC2:TGID_X_EN: 1
; COMPUTE_PGM_RSRC2:TGID_Y_EN: 0
; COMPUTE_PGM_RSRC2:TGID_Z_EN: 0
; COMPUTE_PGM_RSRC2:TIDIG_COMP_CNT: 0
; COMPUTE_PGM_RSRC3_GFX90A:ACCUM_OFFSET: 30
; COMPUTE_PGM_RSRC3_GFX90A:TG_SPLIT: 0
	.text
	.p2alignl 6, 3212836864
	.fill 256, 4, 3212836864
	.type	__hip_cuid_788d9ebb25b9a73e,@object ; @__hip_cuid_788d9ebb25b9a73e
	.section	.bss,"aw",@nobits
	.globl	__hip_cuid_788d9ebb25b9a73e
__hip_cuid_788d9ebb25b9a73e:
	.byte	0                               ; 0x0
	.size	__hip_cuid_788d9ebb25b9a73e, 1

	.ident	"AMD clang version 19.0.0git (https://github.com/RadeonOpenCompute/llvm-project roc-6.4.0 25133 c7fe45cf4b819c5991fe208aaa96edf142730f1d)"
	.section	".note.GNU-stack","",@progbits
	.addrsig
	.addrsig_sym __hip_cuid_788d9ebb25b9a73e
	.amdgpu_metadata
---
amdhsa.kernels:
  - .agpr_count:     0
    .args:
      - .actual_access:  read_only
        .address_space:  global
        .offset:         0
        .size:           8
        .value_kind:     global_buffer
      - .actual_access:  read_only
        .address_space:  global
        .offset:         8
        .size:           8
        .value_kind:     global_buffer
      - .actual_access:  read_only
        .address_space:  global
        .offset:         16
        .size:           8
        .value_kind:     global_buffer
      - .actual_access:  read_only
        .address_space:  global
        .offset:         24
        .size:           8
        .value_kind:     global_buffer
      - .actual_access:  read_only
        .address_space:  global
        .offset:         32
        .size:           8
        .value_kind:     global_buffer
      - .offset:         40
        .size:           8
        .value_kind:     by_value
      - .address_space:  global
        .offset:         48
        .size:           8
        .value_kind:     global_buffer
      - .address_space:  global
        .offset:         56
        .size:           8
        .value_kind:     global_buffer
      - .address_space:  global
        .offset:         64
        .size:           8
        .value_kind:     global_buffer
      - .address_space:  global
        .offset:         72
        .size:           8
        .value_kind:     global_buffer
      - .offset:         80
        .size:           4
        .value_kind:     by_value
      - .address_space:  global
        .offset:         88
        .size:           8
        .value_kind:     global_buffer
      - .address_space:  global
        .offset:         96
        .size:           8
        .value_kind:     global_buffer
    .group_segment_fixed_size: 23328
    .kernarg_segment_align: 8
    .kernarg_segment_size: 104
    .language:       OpenCL C
    .language_version:
      - 2
      - 0
    .max_flat_workgroup_size: 243
    .name:           bluestein_single_fwd_len162_dim1_dp_op_CI_CI
    .private_segment_fixed_size: 0
    .sgpr_count:     26
    .sgpr_spill_count: 0
    .symbol:         bluestein_single_fwd_len162_dim1_dp_op_CI_CI.kd
    .uniform_work_group_size: 1
    .uses_dynamic_stack: false
    .vgpr_count:     124
    .vgpr_spill_count: 0
    .wavefront_size: 64
amdhsa.target:   amdgcn-amd-amdhsa--gfx950
amdhsa.version:
  - 1
  - 2
...

	.end_amdgpu_metadata
